;; amdgpu-corpus repo=ROCm/rocFFT kind=compiled arch=gfx1030 opt=O3
	.text
	.amdgcn_target "amdgcn-amd-amdhsa--gfx1030"
	.amdhsa_code_object_version 6
	.protected	bluestein_single_back_len2592_dim1_sp_op_CI_CI ; -- Begin function bluestein_single_back_len2592_dim1_sp_op_CI_CI
	.globl	bluestein_single_back_len2592_dim1_sp_op_CI_CI
	.p2align	8
	.type	bluestein_single_back_len2592_dim1_sp_op_CI_CI,@function
bluestein_single_back_len2592_dim1_sp_op_CI_CI: ; @bluestein_single_back_len2592_dim1_sp_op_CI_CI
; %bb.0:
	s_load_dwordx4 s[12:15], s[4:5], 0x28
	v_mul_u32_u24_e32 v1, 0x130, v0
	v_mov_b32_e32 v89, 0
	s_mov_b32 s0, exec_lo
	v_lshrrev_b32_e32 v1, 16, v1
	v_add_nc_u32_e32 v88, s6, v1
	s_waitcnt lgkmcnt(0)
	v_cmpx_gt_u64_e64 s[12:13], v[88:89]
	s_cbranch_execz .LBB0_2
; %bb.1:
	s_clause 0x1
	s_load_dwordx4 s[0:3], s[4:5], 0x18
	s_load_dwordx4 s[8:11], s[4:5], 0x0
	v_mul_lo_u16 v1, 0xd8, v1
	v_mov_b32_e32 v32, 3
	s_load_dwordx2 s[4:5], s[4:5], 0x38
	v_sub_nc_u16 v16, v0, v1
	v_and_b32_e32 v117, 0xffff, v16
	v_mul_lo_u16 v31, v16, 6
	v_lshlrev_b32_e32 v111, 3, v117
	v_lshlrev_b32_sdwa v119, v32, v31 dst_sel:DWORD dst_unused:UNUSED_PAD src0_sel:DWORD src1_sel:WORD_0
	s_waitcnt lgkmcnt(0)
	s_load_dwordx4 s[16:19], s[0:1], 0x0
	s_clause 0x1
	global_load_dwordx2 v[66:67], v111, s[8:9]
	global_load_dwordx2 v[64:65], v111, s[8:9] offset:1728
	v_add_co_u32 v42, s0, s8, v111
	v_add_co_ci_u32_e64 v43, null, s9, 0, s0
	v_add_nc_u32_e32 v116, 0xd00, v111
	v_add_co_u32 v0, vcc_lo, 0x800, v42
	v_add_co_ci_u32_e32 v1, vcc_lo, 0, v43, vcc_lo
	v_add_co_u32 v2, vcc_lo, 0x1800, v42
	v_add_co_ci_u32_e32 v3, vcc_lo, 0, v43, vcc_lo
	;; [unrolled: 2-line block ×3, first 2 shown]
	s_waitcnt lgkmcnt(0)
	v_mad_u64_u32 v[6:7], null, s18, v88, 0
	v_add_co_u32 v8, vcc_lo, 0x3000, v42
	v_mad_u64_u32 v[10:11], null, s16, v117, 0
	v_add_co_ci_u32_e32 v9, vcc_lo, 0, v43, vcc_lo
	v_add_co_u32 v12, vcc_lo, 0x4000, v42
	v_mad_u64_u32 v[17:18], null, s19, v88, v[7:8]
	v_add_co_ci_u32_e32 v13, vcc_lo, 0, v43, vcc_lo
	v_mad_u64_u32 v[20:21], null, s17, v117, v[11:12]
	v_add_co_u32 v14, vcc_lo, 0x1000, v42
	v_mov_b32_e32 v7, v17
	v_add_co_ci_u32_e32 v15, vcc_lo, 0, v43, vcc_lo
	v_add_co_u32 v18, vcc_lo, 0x2000, v42
	v_add_co_ci_u32_e32 v19, vcc_lo, 0, v43, vcc_lo
	v_add_co_u32 v21, vcc_lo, 0x3800, v42
	v_mov_b32_e32 v11, v20
	v_lshlrev_b64 v[6:7], 3, v[6:7]
	v_add_co_ci_u32_e32 v22, vcc_lo, 0, v43, vcc_lo
	v_add_co_u32 v23, vcc_lo, 0x4800, v42
	v_add_co_ci_u32_e32 v24, vcc_lo, 0, v43, vcc_lo
	s_clause 0x2
	global_load_dwordx2 v[68:69], v[0:1], off offset:1408
	global_load_dwordx2 v[72:73], v[2:3], off offset:768
	;; [unrolled: 1-line block ×3, first 2 shown]
	v_lshlrev_b64 v[0:1], 3, v[10:11]
	v_add_co_u32 v6, vcc_lo, s14, v6
	v_add_co_ci_u32_e32 v7, vcc_lo, s15, v7, vcc_lo
	s_mul_i32 s0, s17, 0xd80
	v_add_co_u32 v0, vcc_lo, v6, v0
	v_add_co_ci_u32_e32 v1, vcc_lo, v7, v1, vcc_lo
	s_mul_hi_u32 s1, s16, 0xd80
	s_mul_i32 s6, s16, 0xd80
	s_add_i32 s1, s1, s0
	v_add_co_u32 v6, vcc_lo, v0, s6
	v_add_co_ci_u32_e32 v7, vcc_lo, s1, v1, vcc_lo
	global_load_dwordx2 v[0:1], v[0:1], off
	v_add_co_u32 v2, vcc_lo, v6, s6
	v_add_co_ci_u32_e32 v3, vcc_lo, s1, v7, vcc_lo
	global_load_dwordx2 v[6:7], v[6:7], off
	;; [unrolled: 3-line block ×3, first 2 shown]
	s_clause 0x1
	global_load_dwordx2 v[76:77], v[12:13], off offset:896
	global_load_dwordx2 v[74:75], v[14:15], off offset:1088
	v_add_co_u32 v10, vcc_lo, v8, s6
	v_add_co_ci_u32_e32 v11, vcc_lo, s1, v9, vcc_lo
	s_mul_i32 s0, s17, 0xffffc340
	v_add_co_u32 v25, vcc_lo, v10, s6
	v_add_co_ci_u32_e32 v26, vcc_lo, s1, v11, vcc_lo
	s_sub_i32 s0, s0, s16
	global_load_dwordx2 v[8:9], v[8:9], off
	s_clause 0x1
	global_load_dwordx2 v[82:83], v[4:5], off offset:128
	global_load_dwordx2 v[78:79], v[18:19], off offset:448
	global_load_dwordx2 v[10:11], v[10:11], off
	global_load_dwordx2 v[80:81], v[4:5], off offset:1856
	v_mad_u64_u32 v[12:13], null, 0xffffc340, s16, v[25:26]
	global_load_dwordx2 v[4:5], v[25:26], off
	v_add_nc_u32_e32 v114, 0x1a00, v111
	v_add_nc_u32_e32 v115, 0x2800, v111
	;; [unrolled: 1-line block ×5, first 2 shown]
	v_add_co_u32 v14, vcc_lo, v12, s6
	v_add_co_ci_u32_e32 v15, vcc_lo, s1, v13, vcc_lo
	v_add_co_u32 v17, vcc_lo, v14, s6
	global_load_dwordx2 v[12:13], v[12:13], off
	v_add_co_ci_u32_e32 v18, vcc_lo, s1, v15, vcc_lo
	v_add_co_u32 v19, vcc_lo, v17, s6
	global_load_dwordx2 v[14:15], v[14:15], off
	v_add_co_ci_u32_e32 v20, vcc_lo, s1, v18, vcc_lo
	global_load_dwordx2 v[25:26], v[17:18], off
	v_add_co_u32 v17, vcc_lo, v19, s6
	v_add_co_ci_u32_e32 v18, vcc_lo, s1, v20, vcc_lo
	global_load_dwordx2 v[27:28], v[19:20], off
	v_add_co_u32 v19, vcc_lo, v17, s6
	v_add_co_ci_u32_e32 v20, vcc_lo, s1, v18, vcc_lo
	global_load_dwordx2 v[84:85], v[21:22], off offset:1216
	global_load_dwordx2 v[29:30], v[17:18], off
	global_load_dwordx2 v[86:87], v[23:24], off offset:576
	global_load_dwordx2 v[22:23], v[19:20], off
	v_mov_b32_e32 v19, 0xaaab
	v_and_b32_e32 v18, 0xff, v16
	v_add_co_u32 v17, null, 0xd8, v117
	s_load_dwordx4 s[0:3], s[2:3], 0x0
	v_mul_lo_u16 v20, 0xab, v18
	v_mul_u32_u24_sdwa v19, v17, v19 dst_sel:DWORD dst_unused:UNUSED_PAD src0_sel:WORD_0 src1_sel:DWORD
	v_mul_lo_u16 v18, v18, 57
	v_lshrrev_b16 v20, 10, v20
	v_lshrrev_b32_e32 v19, 18, v19
	v_mul_lo_u16 v21, v20, 6
	v_mul_lo_u16 v24, v19, 6
	v_sub_nc_u16 v37, v16, v21
	v_sub_nc_u16 v21, v17, v24
	s_waitcnt vmcnt(18)
	v_mul_f32_e32 v33, v1, v67
	v_mul_f32_e32 v24, v0, v67
	s_waitcnt vmcnt(17)
	v_mul_f32_e32 v34, v6, v69
	v_fmac_f32_e32 v33, v0, v66
	v_mul_f32_e32 v35, v7, v69
	s_waitcnt vmcnt(16)
	v_mul_f32_e32 v0, v3, v73
	v_mul_f32_e32 v38, v2, v73
	v_fma_f32 v36, v7, v68, -v34
	v_fma_f32 v34, v1, v66, -v24
	v_fmac_f32_e32 v35, v6, v68
	v_fmac_f32_e32 v0, v2, v72
	v_fma_f32 v1, v3, v72, -v38
	ds_write_b64 v111, v[35:36] offset:3456
	ds_write_b64 v111, v[0:1] offset:6912
	s_waitcnt vmcnt(12)
	v_mul_f32_e32 v3, v8, v83
	v_mul_f32_e32 v2, v9, v83
	s_waitcnt vmcnt(10)
	v_mul_f32_e32 v6, v11, v71
	v_mul_f32_e32 v1, v10, v71
	v_fma_f32 v3, v9, v82, -v3
	s_waitcnt vmcnt(8)
	v_mul_f32_e32 v0, v5, v77
	v_mul_f32_e32 v9, v4, v77
	v_fmac_f32_e32 v2, v8, v82
	v_fmac_f32_e32 v6, v10, v70
	v_fma_f32 v7, v11, v70, -v1
	v_fmac_f32_e32 v0, v4, v76
	v_fma_f32 v1, v5, v76, -v9
	ds_write_b64 v111, v[2:3] offset:10368
	ds_write_b64 v111, v[6:7] offset:13824
	;; [unrolled: 1-line block ×3, first 2 shown]
	s_waitcnt vmcnt(7)
	v_mul_f32_e32 v8, v13, v65
	v_mul_f32_e32 v10, v12, v65
	v_fmac_f32_e32 v8, v12, v64
	v_fma_f32 v9, v13, v64, -v10
	s_waitcnt vmcnt(6)
	v_mul_f32_e32 v0, v15, v75
	v_mul_f32_e32 v1, v14, v75
	s_waitcnt vmcnt(5)
	v_mul_f32_e32 v2, v26, v79
	v_mul_f32_e32 v3, v25, v79
	ds_write2_b64 v111, v[33:34], v[8:9] offset1:216
	v_fmac_f32_e32 v0, v14, v74
	s_waitcnt vmcnt(4)
	v_mul_f32_e32 v4, v28, v81
	v_mul_f32_e32 v5, v27, v81
	v_fma_f32 v1, v15, v74, -v1
	s_waitcnt vmcnt(2)
	v_mul_f32_e32 v6, v30, v85
	v_mul_f32_e32 v7, v29, v85
	s_waitcnt vmcnt(0)
	v_mul_f32_e32 v8, v23, v87
	v_mul_f32_e32 v9, v22, v87
	v_fmac_f32_e32 v2, v25, v78
	v_fma_f32 v3, v26, v78, -v3
	v_fmac_f32_e32 v4, v27, v80
	v_fma_f32 v5, v28, v80, -v5
	;; [unrolled: 2-line block ×4, first 2 shown]
	ds_write_b64 v111, v[0:1] offset:5184
	ds_write_b64 v111, v[2:3] offset:8640
	;; [unrolled: 1-line block ×5, first 2 shown]
	s_waitcnt lgkmcnt(0)
	s_barrier
	buffer_gl0_inv
	ds_read2_b64 v[0:3], v111 offset1:216
	ds_read2_b64 v[4:7], v114 offset0:32 offset1:248
	ds_read2_b64 v[8:11], v112 offset1:216
	ds_read2_b64 v[12:15], v116 offset0:16 offset1:232
	ds_read2_b64 v[23:26], v115 offset0:16 offset1:232
	;; [unrolled: 1-line block ×3, first 2 shown]
	v_mul_lo_u16 v34, v21, 40
	v_and_b32_e32 v22, 0xff, v37
	v_mul_u32_u24_e32 v33, 6, v17
	s_waitcnt lgkmcnt(0)
	s_barrier
	v_and_b32_e32 v31, 0xffff, v34
	buffer_gl0_inv
	v_lshlrev_b32_e32 v118, 3, v33
	v_mad_u64_u32 v[33:34], null, v22, 40, s[10:11]
	v_add_co_u32 v35, s6, s10, v31
	v_add_co_ci_u32_e64 v36, null, s11, 0, s6
	v_add_f32_e32 v31, v0, v4
	v_add_f32_e32 v37, v4, v8
	v_sub_f32_e32 v40, v4, v8
	v_add_f32_e32 v4, v12, v23
	v_add_f32_e32 v41, v23, v27
	v_sub_f32_e32 v44, v24, v28
	v_add_f32_e32 v45, v13, v24
	v_add_f32_e32 v24, v24, v28
	;; [unrolled: 1-line block ×4, first 2 shown]
	v_sub_f32_e32 v52, v26, v30
	v_add_f32_e32 v53, v15, v26
	v_add_f32_e32 v26, v26, v30
	;; [unrolled: 1-line block ×4, first 2 shown]
	v_sub_f32_e32 v23, v23, v27
	v_add_f32_e32 v50, v14, v25
	v_sub_f32_e32 v54, v25, v29
	v_add_f32_e32 v8, v31, v8
	v_add_f32_e32 v25, v4, v27
	v_fma_f32 v12, -0.5, v41, v12
	v_fma_f32 v13, -0.5, v24, v13
	v_sub_f32_e32 v38, v5, v9
	v_add_f32_e32 v5, v5, v9
	v_sub_f32_e32 v48, v7, v11
	v_add_f32_e32 v49, v3, v7
	v_add_f32_e32 v7, v7, v11
	;; [unrolled: 1-line block ×4, first 2 shown]
	v_fma_f32 v14, -0.5, v51, v14
	v_fmac_f32_e32 v15, -0.5, v26
	v_sub_f32_e32 v6, v6, v10
	v_add_f32_e32 v28, v46, v10
	v_fma_f32 v24, -0.5, v37, v0
	v_fma_f32 v39, -0.5, v47, v2
	v_add_f32_e32 v4, v8, v25
	v_sub_f32_e32 v10, v8, v25
	v_fmamk_f32 v2, v44, 0x3f5db3d7, v12
	v_fmamk_f32 v8, v23, 0xbf5db3d7, v13
	v_fma_f32 v37, -0.5, v5, v1
	v_fmac_f32_e32 v12, 0xbf5db3d7, v44
	v_fmac_f32_e32 v13, 0x3f5db3d7, v23
	v_add_f32_e32 v31, v49, v11
	v_add_f32_e32 v30, v53, v30
	v_fmac_f32_e32 v3, -0.5, v7
	v_add_f32_e32 v5, v9, v27
	v_sub_f32_e32 v11, v9, v27
	v_fmamk_f32 v7, v52, 0x3f5db3d7, v14
	v_fmamk_f32 v9, v54, 0xbf5db3d7, v15
	v_fmac_f32_e32 v15, 0x3f5db3d7, v54
	v_add_f32_e32 v29, v50, v29
	v_fmac_f32_e32 v14, 0xbf5db3d7, v52
	v_fmamk_f32 v23, v38, 0x3f5db3d7, v24
	v_fmac_f32_e32 v24, 0xbf5db3d7, v38
	v_mul_f32_e32 v38, 0x3f5db3d7, v8
	v_mul_f32_e32 v41, 0xbf5db3d7, v2
	v_fmamk_f32 v27, v40, 0xbf5db3d7, v37
	v_fmac_f32_e32 v37, 0x3f5db3d7, v40
	v_mul_f32_e32 v40, -0.5, v12
	v_mul_f32_e32 v44, -0.5, v13
	v_add_f32_e32 v1, v31, v30
	v_sub_f32_e32 v26, v31, v30
	v_mul_f32_e32 v30, -0.5, v15
	v_mul_f32_e32 v45, 0x3f5db3d7, v9
	v_mul_f32_e32 v46, 0xbf5db3d7, v7
	v_add_f32_e32 v0, v28, v29
	v_sub_f32_e32 v25, v28, v29
	v_mul_f32_e32 v29, -0.5, v14
	v_fmac_f32_e32 v38, 0.5, v2
	v_fmac_f32_e32 v41, 0.5, v8
	v_fmac_f32_e32 v40, 0x3f5db3d7, v13
	v_fmac_f32_e32 v44, 0xbf5db3d7, v12
	v_fmamk_f32 v28, v48, 0x3f5db3d7, v39
	v_fmamk_f32 v31, v6, 0xbf5db3d7, v3
	v_fmac_f32_e32 v3, 0x3f5db3d7, v6
	v_fmac_f32_e32 v45, 0.5, v7
	v_fmac_f32_e32 v30, 0xbf5db3d7, v14
	v_fmac_f32_e32 v46, 0.5, v9
	v_fmac_f32_e32 v39, 0xbf5db3d7, v48
	v_fmac_f32_e32 v29, 0x3f5db3d7, v15
	v_add_f32_e32 v6, v23, v38
	v_add_f32_e32 v7, v27, v41
	;; [unrolled: 1-line block ×4, first 2 shown]
	v_sub_f32_e32 v12, v23, v38
	v_sub_f32_e32 v14, v24, v40
	;; [unrolled: 1-line block ×4, first 2 shown]
	v_add_f32_e32 v24, v3, v30
	v_sub_f32_e32 v30, v3, v30
	v_add_f32_e32 v2, v28, v45
	v_add_f32_e32 v3, v31, v46
	;; [unrolled: 1-line block ×3, first 2 shown]
	v_sub_f32_e32 v27, v28, v45
	v_sub_f32_e32 v29, v39, v29
	;; [unrolled: 1-line block ×3, first 2 shown]
	ds_write_b128 v119, v[4:7]
	ds_write_b128 v119, v[8:11] offset:16
	ds_write_b128 v119, v[12:15] offset:32
	ds_write_b128 v118, v[0:3]
	ds_write_b128 v118, v[23:26] offset:16
	ds_write_b128 v118, v[27:30] offset:32
	s_waitcnt lgkmcnt(0)
	s_barrier
	buffer_gl0_inv
	s_clause 0x5
	global_load_dwordx4 v[8:11], v[33:34], off
	global_load_dwordx4 v[4:7], v[35:36], off
	global_load_dwordx4 v[0:3], v[33:34], off offset:16
	global_load_dwordx4 v[12:15], v[35:36], off offset:16
	global_load_dwordx2 v[91:92], v[33:34], off offset:32
	global_load_dwordx2 v[89:90], v[35:36], off offset:32
	v_mov_b32_e32 v23, 0xe38f
	v_lshrrev_b16 v41, 11, v18
	v_mov_b32_e32 v24, 36
	ds_read2_b64 v[27:30], v114 offset0:32 offset1:248
	ds_read2_b64 v[33:36], v112 offset1:216
	v_mul_u32_u24_sdwa v23, v17, v23 dst_sel:DWORD dst_unused:UNUSED_PAD src0_sel:WORD_0 src1_sel:DWORD
	v_mul_lo_u16 v18, v41, 36
	v_lshrrev_b32_e32 v52, 21, v23
	v_sub_nc_u16 v16, v16, v18
	v_mul_lo_u16 v23, v52, 36
	v_and_b32_e32 v56, 0xff, v16
	v_sub_nc_u16 v53, v17, v23
	v_mul_u32_u24_sdwa v17, v20, v24 dst_sel:DWORD dst_unused:UNUSED_PAD src0_sel:WORD_0 src1_sel:DWORD
	ds_read2_b64 v[23:26], v116 offset0:16 offset1:232
	v_mad_u16 v20, v19, 36, v21
	v_mad_u64_u32 v[48:49], null, v56, 40, s[10:11]
	v_mul_lo_u16 v16, v53, 40
	v_add_lshl_u32 v120, v17, v22, 3
	v_lshlrev_b32_sdwa v121, v32, v20 dst_sel:DWORD dst_unused:UNUSED_PAD src0_sel:DWORD src1_sel:WORD_0
	v_and_b32_e32 v21, 0xffff, v16
	ds_read2_b64 v[16:19], v115 offset0:16 offset1:232
	ds_read2_b64 v[37:40], v113 offset0:16 offset1:232
	ds_read2_b64 v[44:47], v111 offset1:216
	s_waitcnt vmcnt(0) lgkmcnt(0)
	s_barrier
	v_add_co_u32 v50, s6, s10, v21
	v_add_co_ci_u32_e64 v51, null, s11, 0, s6
	buffer_gl0_inv
	s_mul_i32 s6, s1, 0xd80
	v_mul_f32_e32 v20, v24, v9
	v_mul_f32_e32 v31, v23, v9
	;; [unrolled: 1-line block ×17, first 2 shown]
	v_fma_f32 v100, v23, v8, -v20
	v_fma_f32 v16, v16, v0, -v59
	v_fmac_f32_e32 v60, v17, v0
	v_fma_f32 v23, v37, v91, -v96
	v_fmac_f32_e32 v97, v38, v91
	v_mul_f32_e32 v57, v30, v7
	v_mul_f32_e32 v93, v33, v3
	;; [unrolled: 1-line block ×3, first 2 shown]
	v_fmac_f32_e32 v31, v24, v8
	v_fma_f32 v24, v25, v4, -v54
	v_fma_f32 v20, v27, v10, -v21
	v_fmac_f32_e32 v22, v28, v10
	v_fma_f32 v17, v18, v12, -v61
	v_fmac_f32_e32 v62, v19, v12
	;; [unrolled: 2-line block ×3, first 2 shown]
	v_fmac_f32_e32 v55, v26, v4
	v_fmac_f32_e32 v58, v30, v6
	v_fma_f32 v18, v33, v2, -v63
	v_fma_f32 v19, v35, v14, -v94
	v_add_f32_e32 v30, v60, v97
	v_add_f32_e32 v35, v16, v23
	v_fma_f32 v21, v29, v6, -v57
	v_fmac_f32_e32 v93, v34, v2
	v_fmac_f32_e32 v95, v36, v14
	v_add_f32_e32 v26, v44, v20
	v_add_f32_e32 v28, v45, v22
	;; [unrolled: 1-line block ×7, first 2 shown]
	v_sub_f32_e32 v36, v16, v23
	v_sub_f32_e32 v37, v60, v97
	v_add_f32_e32 v38, v47, v58
	v_add_f32_e32 v57, v55, v62
	v_fmac_f32_e32 v31, -0.5, v30
	v_fmac_f32_e32 v100, -0.5, v35
	v_sub_f32_e32 v20, v20, v18
	v_sub_f32_e32 v29, v22, v93
	v_add_f32_e32 v22, v22, v93
	v_add_f32_e32 v16, v58, v95
	;; [unrolled: 1-line block ×3, first 2 shown]
	v_sub_f32_e32 v59, v21, v19
	v_sub_f32_e32 v60, v17, v25
	;; [unrolled: 1-line block ×3, first 2 shown]
	v_add_f32_e32 v17, v21, v19
	v_add_f32_e32 v21, v46, v21
	;; [unrolled: 1-line block ×5, first 2 shown]
	v_fmac_f32_e32 v24, -0.5, v39
	v_fmac_f32_e32 v55, -0.5, v54
	v_add_f32_e32 v23, v34, v23
	v_fma_f32 v30, -0.5, v27, v44
	v_add_f32_e32 v27, v57, v99
	v_add_f32_e32 v34, v38, v95
	v_fmamk_f32 v38, v36, 0xbf5db3d7, v31
	v_fmamk_f32 v39, v37, 0x3f5db3d7, v100
	v_fmac_f32_e32 v100, 0xbf5db3d7, v37
	v_fmac_f32_e32 v31, 0x3f5db3d7, v36
	v_sub_f32_e32 v58, v58, v95
	v_fma_f32 v33, -0.5, v22, v45
	v_fmac_f32_e32 v47, -0.5, v16
	v_fma_f32 v35, -0.5, v17, v46
	v_add_f32_e32 v22, v21, v19
	v_add_f32_e32 v17, v26, v28
	v_sub_f32_e32 v19, v26, v28
	v_fmamk_f32 v26, v60, 0xbf5db3d7, v55
	v_fmamk_f32 v28, v61, 0x3f5db3d7, v24
	v_fmac_f32_e32 v55, 0x3f5db3d7, v60
	v_fmac_f32_e32 v24, 0xbf5db3d7, v61
	v_add_f32_e32 v25, v40, v25
	v_add_f32_e32 v16, v18, v23
	v_fmamk_f32 v40, v29, 0x3f5db3d7, v30
	v_sub_f32_e32 v18, v18, v23
	v_fmac_f32_e32 v30, 0xbf5db3d7, v29
	v_add_f32_e32 v21, v34, v27
	v_sub_f32_e32 v23, v34, v27
	v_mul_f32_e32 v29, 0x3f5db3d7, v38
	v_mul_f32_e32 v34, 0xbf5db3d7, v39
	v_mul_f32_e32 v36, -0.5, v100
	v_mul_f32_e32 v37, -0.5, v31
	v_fmamk_f32 v45, v59, 0xbf5db3d7, v47
	v_fmac_f32_e32 v47, 0x3f5db3d7, v59
	v_fmamk_f32 v46, v58, 0x3f5db3d7, v35
	v_fmac_f32_e32 v35, 0xbf5db3d7, v58
	v_mul_f32_e32 v58, 0x3f5db3d7, v26
	v_mul_f32_e32 v59, 0xbf5db3d7, v28
	v_mul_f32_e32 v54, -0.5, v55
	v_mul_f32_e32 v57, -0.5, v24
	v_fmamk_f32 v44, v20, 0xbf5db3d7, v33
	v_fmac_f32_e32 v29, 0.5, v39
	v_fmac_f32_e32 v34, 0.5, v38
	v_fmac_f32_e32 v33, 0x3f5db3d7, v20
	v_fmac_f32_e32 v36, 0x3f5db3d7, v31
	;; [unrolled: 1-line block ×3, first 2 shown]
	v_fmac_f32_e32 v58, 0.5, v28
	v_fmac_f32_e32 v59, 0.5, v26
	v_fmac_f32_e32 v54, 0xbf5db3d7, v24
	v_fmac_f32_e32 v57, 0x3f5db3d7, v55
	v_add_f32_e32 v20, v22, v25
	v_sub_f32_e32 v22, v22, v25
	v_add_f32_e32 v24, v40, v29
	v_add_f32_e32 v25, v44, v34
	;; [unrolled: 1-line block ×4, first 2 shown]
	v_sub_f32_e32 v28, v40, v29
	v_sub_f32_e32 v29, v44, v34
	;; [unrolled: 1-line block ×4, first 2 shown]
	v_add_f32_e32 v37, v46, v58
	v_add_f32_e32 v38, v45, v59
	;; [unrolled: 1-line block ×4, first 2 shown]
	v_sub_f32_e32 v36, v47, v54
	v_sub_f32_e32 v35, v35, v57
	;; [unrolled: 1-line block ×4, first 2 shown]
	ds_write2_b64 v120, v[16:17], v[24:25] offset1:6
	ds_write2_b64 v120, v[26:27], v[18:19] offset0:12 offset1:18
	ds_write2_b64 v120, v[28:29], v[30:31] offset0:24 offset1:30
	ds_write2_b64 v121, v[20:21], v[37:38] offset1:6
	ds_write2_b64 v121, v[33:34], v[22:23] offset0:12 offset1:18
	ds_write2_b64 v121, v[39:40], v[35:36] offset0:24 offset1:30
	s_waitcnt lgkmcnt(0)
	s_barrier
	buffer_gl0_inv
	s_clause 0x5
	global_load_dwordx4 v[16:19], v[48:49], off offset:240
	global_load_dwordx4 v[20:23], v[50:51], off offset:240
	;; [unrolled: 1-line block ×4, first 2 shown]
	global_load_dwordx2 v[95:96], v[48:49], off offset:272
	global_load_dwordx2 v[93:94], v[50:51], off offset:272
	v_mov_b32_e32 v37, 0xd8
	ds_read2_b64 v[33:36], v116 offset0:16 offset1:232
	ds_read2_b64 v[44:47], v114 offset0:32 offset1:248
	;; [unrolled: 1-line block ×3, first 2 shown]
	v_mad_u16 v38, 0xd8, v52, v53
	v_mul_u32_u24_sdwa v37, v41, v37 dst_sel:DWORD dst_unused:UNUSED_PAD src0_sel:WORD_0 src1_sel:DWORD
	ds_read2_b64 v[52:55], v112 offset1:216
	v_mad_u64_u32 v[40:41], null, v117, 40, s[10:11]
	v_lshlrev_b32_sdwa v122, v32, v38 dst_sel:DWORD dst_unused:UNUSED_PAD src0_sel:DWORD src1_sel:WORD_0
	v_add_lshl_u32 v123, v37, v56, 3
	ds_read2_b64 v[56:59], v113 offset0:16 offset1:232
	ds_read2_b64 v[60:63], v111 offset1:216
	s_waitcnt vmcnt(0) lgkmcnt(0)
	s_barrier
	buffer_gl0_inv
	v_mul_f32_e32 v32, v34, v17
	v_mul_f32_e32 v97, v33, v17
	;; [unrolled: 1-line block ×20, first 2 shown]
	v_fma_f32 v126, v33, v16, -v32
	v_fmac_f32_e32 v97, v34, v16
	v_fma_f32 v32, v44, v18, -v38
	v_fma_f32 v34, v48, v24, -v101
	v_fmac_f32_e32 v102, v49, v24
	v_fma_f32 v38, v56, v95, -v109
	v_fmac_f32_e32 v110, v57, v95
	v_fma_f32 v127, v35, v20, -v37
	v_fmac_f32_e32 v98, v36, v20
	v_fmac_f32_e32 v39, v45, v18
	v_fma_f32 v35, v50, v28, -v103
	v_fmac_f32_e32 v104, v51, v28
	v_fma_f32 v36, v52, v26, -v105
	;; [unrolled: 2-line block ×5, first 2 shown]
	v_fmac_f32_e32 v108, v55, v30
	v_add_f32_e32 v49, v102, v110
	v_add_f32_e32 v52, v34, v38
	;; [unrolled: 1-line block ×4, first 2 shown]
	v_sub_f32_e32 v47, v32, v36
	v_add_f32_e32 v32, v61, v39
	v_sub_f32_e32 v48, v39, v106
	v_add_f32_e32 v39, v39, v106
	v_add_f32_e32 v50, v97, v102
	;; [unrolled: 1-line block ×5, first 2 shown]
	v_sub_f32_e32 v53, v34, v38
	v_sub_f32_e32 v54, v102, v110
	v_add_f32_e32 v34, v62, v33
	v_add_f32_e32 v55, v33, v37
	v_sub_f32_e32 v56, v33, v37
	v_add_f32_e32 v33, v63, v100
	v_add_f32_e32 v57, v100, v108
	;; [unrolled: 3-line block ×3, first 2 shown]
	v_fmac_f32_e32 v97, -0.5, v49
	v_fmac_f32_e32 v126, -0.5, v52
	v_sub_f32_e32 v102, v35, v44
	v_sub_f32_e32 v103, v104, v125
	v_add_f32_e32 v35, v45, v36
	v_add_f32_e32 v36, v32, v106
	v_add_f32_e32 v38, v51, v38
	v_add_f32_e32 v45, v50, v110
	v_fma_f32 v51, -0.5, v39, v61
	v_fmac_f32_e32 v98, -0.5, v59
	v_fmac_f32_e32 v127, -0.5, v101
	v_fma_f32 v50, -0.5, v46, v60
	v_add_f32_e32 v39, v34, v37
	v_add_f32_e32 v46, v33, v108
	v_add_f32_e32 v44, v100, v44
	v_add_f32_e32 v49, v99, v125
	v_fma_f32 v59, -0.5, v55, v62
	v_fmamk_f32 v52, v53, 0xbf5db3d7, v97
	v_fmamk_f32 v55, v54, 0x3f5db3d7, v126
	v_fmac_f32_e32 v126, 0xbf5db3d7, v54
	v_fmac_f32_e32 v97, 0x3f5db3d7, v53
	v_add_f32_e32 v32, v35, v38
	v_add_f32_e32 v33, v36, v45
	v_fmamk_f32 v60, v47, 0xbf5db3d7, v51
	v_sub_f32_e32 v34, v35, v38
	v_sub_f32_e32 v35, v36, v45
	v_fmac_f32_e32 v51, 0x3f5db3d7, v47
	v_fmamk_f32 v45, v102, 0xbf5db3d7, v98
	v_fmamk_f32 v47, v103, 0x3f5db3d7, v127
	v_fmac_f32_e32 v63, -0.5, v57
	v_fmac_f32_e32 v127, 0xbf5db3d7, v103
	v_fmac_f32_e32 v98, 0x3f5db3d7, v102
	v_fmamk_f32 v57, v48, 0x3f5db3d7, v50
	v_fmac_f32_e32 v50, 0xbf5db3d7, v48
	v_add_f32_e32 v36, v39, v44
	v_add_f32_e32 v37, v46, v49
	v_sub_f32_e32 v38, v39, v44
	v_sub_f32_e32 v39, v46, v49
	v_mul_f32_e32 v48, 0x3f5db3d7, v52
	v_mul_f32_e32 v49, 0xbf5db3d7, v55
	v_mul_f32_e32 v53, -0.5, v126
	v_mul_f32_e32 v54, -0.5, v97
	v_fmamk_f32 v61, v58, 0x3f5db3d7, v59
	v_fmac_f32_e32 v59, 0xbf5db3d7, v58
	v_mul_f32_e32 v58, 0x3f5db3d7, v45
	v_mul_f32_e32 v99, 0xbf5db3d7, v47
	v_fmamk_f32 v62, v56, 0xbf5db3d7, v63
	v_fmac_f32_e32 v63, 0x3f5db3d7, v56
	v_mul_f32_e32 v56, -0.5, v127
	v_mul_f32_e32 v100, -0.5, v98
	v_fmac_f32_e32 v48, 0.5, v55
	v_fmac_f32_e32 v49, 0.5, v52
	v_fmac_f32_e32 v53, 0x3f5db3d7, v97
	v_fmac_f32_e32 v54, 0xbf5db3d7, v126
	v_fmac_f32_e32 v58, 0.5, v47
	v_fmac_f32_e32 v99, 0.5, v45
	v_fmac_f32_e32 v56, 0x3f5db3d7, v98
	v_fmac_f32_e32 v100, 0xbf5db3d7, v127
	v_add_f32_e32 v44, v57, v48
	v_add_f32_e32 v45, v60, v49
	;; [unrolled: 1-line block ×4, first 2 shown]
	v_sub_f32_e32 v48, v57, v48
	v_sub_f32_e32 v49, v60, v49
	v_sub_f32_e32 v50, v50, v53
	v_sub_f32_e32 v51, v51, v54
	v_add_f32_e32 v52, v61, v58
	v_add_f32_e32 v53, v62, v99
	v_add_f32_e32 v54, v59, v56
	v_add_f32_e32 v55, v63, v100
	v_sub_f32_e32 v57, v63, v100
	v_sub_f32_e32 v56, v59, v56
	;; [unrolled: 1-line block ×4, first 2 shown]
	ds_write2_b64 v123, v[32:33], v[44:45] offset1:36
	ds_write2_b64 v123, v[46:47], v[34:35] offset0:72 offset1:108
	ds_write2_b64 v123, v[48:49], v[50:51] offset0:144 offset1:180
	ds_write2_b64 v122, v[36:37], v[52:53] offset1:36
	ds_write2_b64 v122, v[54:55], v[38:39] offset0:72 offset1:108
	ds_write2_b64 v122, v[58:59], v[56:57] offset0:144 offset1:180
	s_waitcnt lgkmcnt(0)
	s_barrier
	buffer_gl0_inv
	s_clause 0x2
	global_load_dwordx4 v[32:35], v[40:41], off offset:1680
	global_load_dwordx4 v[36:39], v[40:41], off offset:1696
	global_load_dwordx2 v[97:98], v[40:41], off offset:1712
	v_lshlrev_b32_e32 v44, 5, v117
	v_sub_co_u32 v126, vcc_lo, v40, v44
	ds_read2_b64 v[44:47], v116 offset0:16 offset1:232
	ds_read2_b64 v[48:51], v114 offset0:32 offset1:248
	;; [unrolled: 1-line block ×3, first 2 shown]
	ds_read2_b64 v[56:59], v112 offset1:216
	ds_read2_b64 v[60:63], v113 offset0:16 offset1:232
	ds_read2_b64 v[99:102], v111 offset1:216
	v_subrev_co_ci_u32_e32 v127, vcc_lo, 0, v41, vcc_lo
	v_add_co_u32 v40, vcc_lo, 0x2800, v126
	s_waitcnt vmcnt(0) lgkmcnt(0)
	v_add_co_ci_u32_e32 v41, vcc_lo, 0, v127, vcc_lo
	v_add_co_u32 v107, vcc_lo, 0x3000, v126
	v_add_co_ci_u32_e32 v108, vcc_lo, 0, v127, vcc_lo
	v_add_co_u32 v109, vcc_lo, 0x3800, v126
	;; [unrolled: 2-line block ×3, first 2 shown]
	v_add_co_ci_u32_e32 v125, vcc_lo, 0, v127, vcc_lo
	s_barrier
	buffer_gl0_inv
	v_mul_f32_e32 v104, v44, v33
	v_mul_f32_e32 v105, v47, v33
	;; [unrolled: 1-line block ×10, first 2 shown]
	v_fmac_f32_e32 v104, v45, v32
	v_fma_f32 v105, v46, v32, -v105
	v_mul_f32_e32 v45, v61, v98
	v_mul_f32_e32 v46, v60, v98
	;; [unrolled: 1-line block ×4, first 2 shown]
	v_fmac_f32_e32 v106, v47, v32
	v_mul_f32_e32 v47, v63, v98
	v_fmac_f32_e32 v129, v49, v34
	v_fma_f32 v49, v50, v34, -v130
	v_mul_f32_e32 v50, v62, v98
	v_mul_f32_e32 v136, v57, v39
	v_mul_f32_e32 v137, v56, v39
	v_mul_f32_e32 v138, v59, v39
	v_fma_f32 v103, v44, v32, -v103
	v_mul_f32_e32 v44, v58, v39
	v_fma_f32 v48, v48, v34, -v128
	v_fmac_f32_e32 v131, v51, v34
	v_fma_f32 v51, v52, v36, -v132
	v_fmac_f32_e32 v133, v53, v36
	;; [unrolled: 2-line block ×7, first 2 shown]
	v_add_f32_e32 v55, v99, v48
	v_add_f32_e32 v60, v133, v46
	;; [unrolled: 1-line block ×6, first 2 shown]
	v_sub_f32_e32 v57, v48, v53
	v_add_f32_e32 v48, v100, v129
	v_sub_f32_e32 v58, v129, v137
	v_add_f32_e32 v59, v129, v137
	v_add_f32_e32 v61, v104, v133
	;; [unrolled: 1-line block ×3, first 2 shown]
	v_sub_f32_e32 v128, v51, v45
	v_sub_f32_e32 v129, v133, v46
	v_add_f32_e32 v51, v131, v44
	v_add_f32_e32 v130, v102, v131
	;; [unrolled: 1-line block ×4, first 2 shown]
	v_sub_f32_e32 v138, v49, v54
	v_add_f32_e32 v53, v55, v53
	v_add_f32_e32 v55, v49, v54
	;; [unrolled: 1-line block ×3, first 2 shown]
	v_fmac_f32_e32 v104, -0.5, v60
	v_fmac_f32_e32 v103, -0.5, v63
	v_sub_f32_e32 v135, v135, v50
	v_sub_f32_e32 v52, v52, v47
	v_fmac_f32_e32 v106, -0.5, v132
	v_fmac_f32_e32 v105, -0.5, v134
	v_add_f32_e32 v48, v48, v137
	v_add_f32_e32 v60, v62, v45
	;; [unrolled: 1-line block ×3, first 2 shown]
	v_fma_f32 v56, -0.5, v56, v99
	v_fma_f32 v63, -0.5, v59, v100
	v_fmac_f32_e32 v102, -0.5, v51
	v_fma_f32 v99, -0.5, v55, v101
	v_add_f32_e32 v51, v49, v54
	v_add_f32_e32 v54, v136, v47
	;; [unrolled: 1-line block ×4, first 2 shown]
	v_fmamk_f32 v62, v128, 0xbf5db3d7, v104
	v_fmamk_f32 v100, v129, 0x3f5db3d7, v103
	v_sub_f32_e32 v131, v131, v44
	v_fmac_f32_e32 v103, 0xbf5db3d7, v129
	v_fmac_f32_e32 v104, 0x3f5db3d7, v128
	v_fmamk_f32 v132, v135, 0x3f5db3d7, v105
	v_fmac_f32_e32 v105, 0xbf5db3d7, v135
	v_fmamk_f32 v133, v52, 0xbf5db3d7, v106
	v_fmac_f32_e32 v106, 0x3f5db3d7, v52
	v_add_f32_e32 v45, v48, v61
	v_sub_f32_e32 v47, v48, v61
	v_add_f32_e32 v48, v51, v54
	v_add_f32_e32 v49, v59, v55
	v_sub_f32_e32 v50, v51, v54
	v_sub_f32_e32 v51, v59, v55
	v_mul_f32_e32 v54, 0x3f5db3d7, v62
	v_mul_f32_e32 v59, 0xbf5db3d7, v100
	v_fmamk_f32 v128, v131, 0x3f5db3d7, v99
	v_fmac_f32_e32 v99, 0xbf5db3d7, v131
	v_mul_f32_e32 v129, -0.5, v103
	v_mul_f32_e32 v131, -0.5, v104
	v_mul_f32_e32 v135, 0x3f5db3d7, v133
	v_mul_f32_e32 v136, 0xbf5db3d7, v132
	v_mul_f32_e32 v137, -0.5, v105
	v_fmamk_f32 v130, v57, 0xbf5db3d7, v63
	v_fmac_f32_e32 v63, 0x3f5db3d7, v57
	v_mul_f32_e32 v57, -0.5, v106
	v_fmamk_f32 v101, v58, 0x3f5db3d7, v56
	v_fmac_f32_e32 v54, 0.5, v100
	v_fmac_f32_e32 v59, 0.5, v62
	v_fmac_f32_e32 v56, 0xbf5db3d7, v58
	v_fmac_f32_e32 v129, 0x3f5db3d7, v104
	;; [unrolled: 1-line block ×3, first 2 shown]
	v_fmamk_f32 v134, v138, 0xbf5db3d7, v102
	v_fmac_f32_e32 v135, 0.5, v132
	v_fmac_f32_e32 v136, 0.5, v133
	v_fmac_f32_e32 v137, 0x3f5db3d7, v106
	v_fmac_f32_e32 v102, 0x3f5db3d7, v138
	;; [unrolled: 1-line block ×3, first 2 shown]
	v_add_f32_e32 v44, v53, v60
	v_sub_f32_e32 v46, v53, v60
	v_add_f32_e32 v52, v101, v54
	v_add_f32_e32 v53, v130, v59
	;; [unrolled: 1-line block ×4, first 2 shown]
	v_sub_f32_e32 v58, v101, v54
	v_sub_f32_e32 v59, v130, v59
	;; [unrolled: 1-line block ×4, first 2 shown]
	v_add_f32_e32 v54, v99, v137
	v_sub_f32_e32 v56, v99, v137
	v_add_f32_e32 v99, v128, v135
	v_add_f32_e32 v100, v134, v136
	v_add_f32_e32 v55, v102, v57
	v_sub_f32_e32 v57, v102, v57
	v_sub_f32_e32 v101, v128, v135
	;; [unrolled: 1-line block ×3, first 2 shown]
	ds_write2_b64 v111, v[44:45], v[52:53] offset1:216
	ds_write2_b64 v116, v[60:61], v[46:47] offset0:16 offset1:232
	ds_write2_b64 v114, v[58:59], v[62:63] offset0:32 offset1:248
	;; [unrolled: 1-line block ×3, first 2 shown]
	ds_write2_b64 v112, v[54:55], v[50:51] offset1:216
	ds_write2_b64 v113, v[101:102], v[56:57] offset0:16 offset1:232
	s_waitcnt lgkmcnt(0)
	s_barrier
	buffer_gl0_inv
	s_clause 0x4
	global_load_dwordx2 v[105:106], v[40:41], off offset:80
	global_load_dwordx2 v[103:104], v[40:41], off offset:1808
	;; [unrolled: 1-line block ×5, first 2 shown]
	v_add_co_u32 v40, vcc_lo, 0x4800, v126
	v_add_co_ci_u32_e32 v41, vcc_lo, 0, v127, vcc_lo
	v_add_nc_u32_e32 v124, 0x2f00, v111
	v_add_nc_u32_e32 v125, 0x3c00, v111
	global_load_dwordx2 v[109:110], v[40:41], off offset:528
	ds_read2_b64 v[44:47], v115 offset0:16 offset1:232
	ds_read2_b64 v[48:51], v112 offset1:216
	ds_read2_b64 v[52:55], v113 offset0:16 offset1:232
	ds_read2_b64 v[56:59], v111 offset1:216
	ds_read2_b64 v[60:63], v116 offset0:16 offset1:232
	ds_read2_b64 v[126:129], v114 offset0:32 offset1:248
	v_add_co_u32 v40, vcc_lo, 0x5000, v42
	v_add_co_ci_u32_e32 v41, vcc_lo, 0, v43, vcc_lo
	s_waitcnt vmcnt(5) lgkmcnt(5)
	v_mul_f32_e32 v130, v45, v106
	v_mul_f32_e32 v131, v44, v106
	s_waitcnt vmcnt(4)
	v_mul_f32_e32 v132, v47, v104
	v_mul_f32_e32 v133, v46, v104
	s_waitcnt vmcnt(3) lgkmcnt(4)
	v_mul_f32_e32 v134, v49, v102
	v_mul_f32_e32 v135, v48, v102
	s_waitcnt vmcnt(2)
	v_mul_f32_e32 v136, v51, v100
	v_mul_f32_e32 v137, v50, v100
	s_waitcnt vmcnt(1) lgkmcnt(3)
	v_mul_f32_e32 v138, v53, v108
	v_fma_f32 v44, v44, v105, -v130
	v_fmac_f32_e32 v131, v45, v105
	v_fma_f32 v46, v46, v103, -v132
	v_mul_f32_e32 v130, v52, v108
	s_waitcnt vmcnt(0)
	v_mul_f32_e32 v45, v55, v110
	v_mul_f32_e32 v132, v54, v110
	v_fmac_f32_e32 v133, v47, v103
	v_fma_f32 v48, v48, v101, -v134
	v_fmac_f32_e32 v135, v49, v101
	v_fma_f32 v50, v50, v99, -v136
	;; [unrolled: 2-line block ×4, first 2 shown]
	v_fmac_f32_e32 v132, v55, v109
	s_waitcnt lgkmcnt(2)
	v_sub_f32_e32 v44, v56, v44
	v_sub_f32_e32 v45, v57, v131
	v_sub_f32_e32 v46, v58, v46
	v_sub_f32_e32 v47, v59, v133
	s_waitcnt lgkmcnt(1)
	v_sub_f32_e32 v48, v60, v48
	v_sub_f32_e32 v49, v61, v135
	v_sub_f32_e32 v50, v62, v50
	v_sub_f32_e32 v51, v63, v137
	;; [unrolled: 5-line block ×3, first 2 shown]
	v_fma_f32 v56, v56, 2.0, -v44
	v_fma_f32 v57, v57, 2.0, -v45
	v_fma_f32 v58, v58, 2.0, -v46
	v_fma_f32 v59, v59, 2.0, -v47
	v_fma_f32 v60, v60, 2.0, -v48
	v_fma_f32 v61, v61, 2.0, -v49
	v_fma_f32 v62, v62, 2.0, -v50
	v_fma_f32 v63, v63, 2.0, -v51
	v_fma_f32 v126, v126, 2.0, -v52
	v_fma_f32 v127, v127, 2.0, -v53
	v_fma_f32 v128, v128, 2.0, -v54
	v_fma_f32 v129, v129, 2.0, -v55
	ds_write_b64 v111, v[44:45] offset:10368
	ds_write2_b64 v111, v[56:57], v[58:59] offset1:216
	ds_write2_b64 v124, v[46:47], v[48:49] offset0:8 offset1:224
	ds_write2_b64 v116, v[60:61], v[62:63] offset0:16 offset1:232
	;; [unrolled: 1-line block ×4, first 2 shown]
	ds_write_b64 v111, v[54:55] offset:19008
	s_waitcnt lgkmcnt(0)
	s_barrier
	buffer_gl0_inv
	global_load_dwordx2 v[44:45], v[40:41], off offset:256
	v_add_co_u32 v40, vcc_lo, 0x5800, v42
	v_add_co_ci_u32_e32 v41, vcc_lo, 0, v43, vcc_lo
	v_add_co_u32 v46, vcc_lo, 0x6800, v42
	v_add_co_ci_u32_e32 v47, vcc_lo, 0, v43, vcc_lo
	;; [unrolled: 2-line block ×3, first 2 shown]
	s_clause 0x2
	global_load_dwordx2 v[52:53], v[40:41], off offset:1664
	global_load_dwordx2 v[54:55], v[46:47], off offset:1024
	;; [unrolled: 1-line block ×3, first 2 shown]
	v_add_co_u32 v40, vcc_lo, 0x6000, v42
	v_add_co_ci_u32_e32 v41, vcc_lo, 0, v43, vcc_lo
	global_load_dwordx2 v[58:59], v[40:41], off offset:1344
	v_add_co_u32 v40, vcc_lo, 0x7000, v42
	v_add_co_ci_u32_e32 v41, vcc_lo, 0, v43, vcc_lo
	v_add_co_u32 v46, vcc_lo, 0x7800, v42
	v_add_co_ci_u32_e32 v47, vcc_lo, 0, v43, vcc_lo
	s_clause 0x1
	global_load_dwordx2 v[60:61], v[40:41], off offset:704
	global_load_dwordx2 v[62:63], v[46:47], off offset:384
	v_add_co_u32 v40, vcc_lo, 0x8000, v42
	v_add_co_ci_u32_e32 v41, vcc_lo, 0, v43, vcc_lo
	v_add_co_u32 v46, vcc_lo, 0x8800, v42
	v_add_co_ci_u32_e32 v47, vcc_lo, 0, v43, vcc_lo
	s_clause 0x2
	global_load_dwordx2 v[126:127], v[40:41], off offset:64
	global_load_dwordx2 v[128:129], v[40:41], off offset:1792
	;; [unrolled: 1-line block ×3, first 2 shown]
	v_add_co_u32 v40, vcc_lo, 0x9000, v42
	v_add_co_ci_u32_e32 v41, vcc_lo, 0, v43, vcc_lo
	v_add_co_u32 v42, vcc_lo, 0x9800, v42
	v_add_co_ci_u32_e32 v43, vcc_lo, 0, v43, vcc_lo
	s_clause 0x1
	global_load_dwordx2 v[132:133], v[40:41], off offset:1152
	global_load_dwordx2 v[134:135], v[42:43], off offset:832
	ds_read2_b64 v[40:43], v111 offset1:216
	s_waitcnt vmcnt(11) lgkmcnt(0)
	v_mul_f32_e32 v47, v41, v45
	v_mul_f32_e32 v46, v40, v45
	v_fma_f32 v45, v40, v44, -v47
	v_fmac_f32_e32 v46, v41, v44
	ds_write_b64 v111, v[45:46]
	ds_read2_b64 v[44:47], v116 offset0:16 offset1:232
	ds_read2_b64 v[48:51], v114 offset0:32 offset1:248
	s_waitcnt vmcnt(8)
	v_mul_f32_e32 v40, v43, v57
	v_mul_f32_e32 v137, v42, v57
	v_fma_f32 v136, v42, v56, -v40
	v_fmac_f32_e32 v137, v43, v56
	ds_read2_b64 v[40:43], v115 offset0:16 offset1:232
	s_waitcnt lgkmcnt(2)
	v_mul_f32_e32 v138, v45, v53
	v_mul_f32_e32 v57, v44, v53
	s_waitcnt vmcnt(7)
	v_mul_f32_e32 v53, v46, v59
	v_fma_f32 v56, v44, v52, -v138
	v_mul_f32_e32 v44, v47, v59
	s_waitcnt lgkmcnt(1)
	v_mul_f32_e32 v138, v49, v55
	v_fmac_f32_e32 v57, v45, v52
	v_fmac_f32_e32 v53, v47, v58
	v_mul_f32_e32 v59, v48, v55
	v_fma_f32 v52, v46, v58, -v44
	ds_read2_b64 v[44:47], v112 offset1:216
	v_fma_f32 v58, v48, v54, -v138
	s_waitcnt vmcnt(6)
	v_mul_f32_e32 v48, v51, v61
	v_mul_f32_e32 v55, v50, v61
	v_fmac_f32_e32 v59, v49, v54
	s_waitcnt vmcnt(5) lgkmcnt(1)
	v_mul_f32_e32 v138, v41, v63
	v_mul_f32_e32 v61, v40, v63
	v_fma_f32 v54, v50, v60, -v48
	v_fmac_f32_e32 v55, v51, v60
	ds_read2_b64 v[48:51], v113 offset0:16 offset1:232
	v_fma_f32 v60, v40, v62, -v138
	s_waitcnt vmcnt(4)
	v_mul_f32_e32 v40, v43, v127
	v_fmac_f32_e32 v61, v41, v62
	v_mul_f32_e32 v41, v42, v127
	v_add_nc_u32_e32 v127, 0x1400, v111
	v_fma_f32 v40, v42, v126, -v40
	v_fmac_f32_e32 v41, v43, v126
	v_add_nc_u32_e32 v126, 0x600, v111
	s_waitcnt vmcnt(3) lgkmcnt(1)
	v_mul_f32_e32 v42, v45, v129
	v_mul_f32_e32 v43, v44, v129
	s_waitcnt vmcnt(2)
	v_mul_f32_e32 v62, v47, v131
	v_mul_f32_e32 v63, v46, v131
	v_fma_f32 v42, v44, v128, -v42
	v_fmac_f32_e32 v43, v45, v128
	v_fma_f32 v62, v46, v130, -v62
	v_fmac_f32_e32 v63, v47, v130
	s_waitcnt vmcnt(1) lgkmcnt(0)
	v_mul_f32_e32 v44, v49, v133
	v_mul_f32_e32 v45, v48, v133
	s_waitcnt vmcnt(0)
	v_mul_f32_e32 v46, v51, v135
	v_mul_f32_e32 v47, v50, v135
	v_add_nc_u32_e32 v128, 0x2100, v111
	v_fma_f32 v44, v48, v132, -v44
	v_fmac_f32_e32 v45, v49, v132
	v_fma_f32 v46, v50, v134, -v46
	v_fmac_f32_e32 v47, v51, v134
	ds_write2_b64 v126, v[136:137], v[56:57] offset0:24 offset1:240
	ds_write2_b64 v127, v[52:53], v[58:59] offset0:8 offset1:224
	;; [unrolled: 1-line block ×5, first 2 shown]
	ds_write_b64 v111, v[46:47] offset:19008
	s_waitcnt lgkmcnt(0)
	s_barrier
	buffer_gl0_inv
	ds_read2_b64 v[44:47], v115 offset0:16 offset1:232
	ds_read2_b64 v[48:51], v113 offset0:16 offset1:232
	ds_read2_b64 v[40:43], v111 offset1:216
	ds_read2_b64 v[52:55], v114 offset0:32 offset1:248
	ds_read2_b64 v[56:59], v112 offset1:216
	ds_read2_b64 v[60:63], v116 offset0:16 offset1:232
	s_waitcnt lgkmcnt(0)
	s_barrier
	buffer_gl0_inv
	v_add_f32_e32 v127, v45, v49
	v_add_f32_e32 v126, v44, v48
	;; [unrolled: 1-line block ×6, first 2 shown]
	v_sub_f32_e32 v132, v53, v57
	v_sub_f32_e32 v133, v52, v56
	v_add_f32_e32 v52, v42, v54
	v_add_f32_e32 v53, v43, v55
	;; [unrolled: 1-line block ×3, first 2 shown]
	v_sub_f32_e32 v135, v55, v59
	v_add_f32_e32 v136, v55, v59
	v_sub_f32_e32 v137, v54, v58
	v_add_f32_e32 v54, v128, v56
	v_add_f32_e32 v55, v130, v57
	;; [unrolled: 1-line block ×6, first 2 shown]
	v_sub_f32_e32 v138, v44, v48
	v_add_f32_e32 v44, v60, v44
	v_add_f32_e32 v53, v46, v50
	;; [unrolled: 1-line block ×3, first 2 shown]
	v_fma_f32 v128, -0.5, v127, v61
	v_fmac_f32_e32 v63, -0.5, v59
	v_add_f32_e32 v59, v52, v50
	v_sub_f32_e32 v139, v45, v49
	v_add_f32_e32 v45, v61, v45
	v_sub_f32_e32 v46, v46, v50
	v_sub_f32_e32 v47, v47, v51
	v_fma_f32 v60, -0.5, v126, v60
	v_add_f32_e32 v48, v44, v48
	v_add_f32_e32 v61, v58, v51
	v_fma_f32 v62, -0.5, v53, v62
	v_add_f32_e32 v52, v56, v59
	v_sub_f32_e32 v58, v56, v59
	v_fma_f32 v56, -0.5, v131, v41
	v_fmamk_f32 v41, v138, 0x3f5db3d7, v128
	v_fmac_f32_e32 v128, 0xbf5db3d7, v138
	v_add_f32_e32 v49, v45, v49
	v_fmamk_f32 v130, v46, 0x3f5db3d7, v63
	v_fmac_f32_e32 v63, 0xbf5db3d7, v46
	v_add_f32_e32 v44, v54, v48
	v_sub_f32_e32 v50, v54, v48
	v_add_f32_e32 v53, v57, v61
	v_sub_f32_e32 v59, v57, v61
	v_fma_f32 v40, -0.5, v129, v40
	v_fmamk_f32 v46, v139, 0xbf5db3d7, v60
	v_fmamk_f32 v48, v47, 0xbf5db3d7, v62
	v_fmac_f32_e32 v62, 0x3f5db3d7, v47
	v_mul_f32_e32 v47, 0xbf5db3d7, v41
	v_mul_f32_e32 v61, 0.5, v41
	v_fmac_f32_e32 v60, 0x3f5db3d7, v139
	v_mul_f32_e32 v41, 0xbf5db3d7, v128
	v_mul_f32_e32 v57, -0.5, v128
	v_add_f32_e32 v45, v55, v49
	v_sub_f32_e32 v51, v55, v49
	v_mul_f32_e32 v55, 0xbf5db3d7, v63
	v_mul_f32_e32 v54, -0.5, v63
	v_fmac_f32_e32 v43, -0.5, v136
	v_fma_f32 v42, -0.5, v134, v42
	v_mul_f32_e32 v128, 0xbf5db3d7, v130
	v_mul_f32_e32 v129, 0.5, v130
	v_fmamk_f32 v63, v132, 0xbf5db3d7, v40
	v_fmamk_f32 v49, v133, 0x3f5db3d7, v56
	v_fmac_f32_e32 v47, 0.5, v46
	v_fmac_f32_e32 v61, 0x3f5db3d7, v46
	v_fmac_f32_e32 v40, 0x3f5db3d7, v132
	;; [unrolled: 1-line block ×3, first 2 shown]
	v_fmac_f32_e32 v41, -0.5, v60
	v_fmac_f32_e32 v57, 0x3f5db3d7, v60
	v_fmamk_f32 v126, v137, 0x3f5db3d7, v43
	v_fmac_f32_e32 v43, 0xbf5db3d7, v137
	v_fmamk_f32 v127, v135, 0xbf5db3d7, v42
	v_fmac_f32_e32 v42, 0x3f5db3d7, v135
	v_fmac_f32_e32 v54, 0x3f5db3d7, v62
	v_fmac_f32_e32 v128, 0.5, v48
	v_fmac_f32_e32 v55, -0.5, v62
	v_fmac_f32_e32 v129, 0x3f5db3d7, v48
	v_mad_u64_u32 v[132:133], null, s0, v117, 0
	v_add_f32_e32 v46, v63, v47
	v_sub_f32_e32 v60, v63, v47
	v_add_f32_e32 v47, v49, v61
	v_add_f32_e32 v48, v40, v41
	v_sub_f32_e32 v61, v49, v61
	v_add_f32_e32 v49, v56, v57
	v_sub_f32_e32 v62, v40, v41
	v_sub_f32_e32 v63, v56, v57
	v_add_f32_e32 v57, v43, v54
	v_sub_f32_e32 v131, v43, v54
	v_add_f32_e32 v54, v127, v128
	v_add_f32_e32 v56, v42, v55
	v_sub_f32_e32 v130, v42, v55
	v_add_f32_e32 v55, v126, v129
	v_sub_f32_e32 v128, v127, v128
	v_sub_f32_e32 v129, v126, v129
	ds_write_b128 v119, v[44:47]
	ds_write_b128 v119, v[48:51] offset:16
	ds_write_b128 v119, v[60:63] offset:32
	ds_write_b128 v118, v[52:55]
	ds_write_b128 v118, v[56:59] offset:16
	ds_write_b128 v118, v[128:131] offset:32
	s_waitcnt lgkmcnt(0)
	s_barrier
	buffer_gl0_inv
	ds_read2_b64 v[42:45], v116 offset0:16 offset1:232
	ds_read2_b64 v[46:49], v114 offset0:32 offset1:248
	v_mov_b32_e32 v54, v133
	ds_read2_b64 v[50:53], v115 offset0:16 offset1:232
	v_mad_u64_u32 v[40:41], null, s2, v88, 0
	s_mul_i32 s2, s0, 0xd80
	v_mad_u64_u32 v[117:118], null, s1, v117, v[54:55]
	ds_read2_b64 v[54:57], v112 offset1:216
	ds_read2_b64 v[58:61], v113 offset0:16 offset1:232
	ds_read2_b64 v[126:129], v111 offset1:216
	s_waitcnt lgkmcnt(0)
	s_barrier
	buffer_gl0_inv
	s_mulk_i32 s1, 0xc340
	v_mov_b32_e32 v133, v117
	v_mad_u64_u32 v[62:63], null, s3, v88, v[41:42]
	v_mul_f32_e32 v41, v9, v43
	v_mul_f32_e32 v9, v9, v42
	;; [unrolled: 1-line block ×8, first 2 shown]
	v_fmac_f32_e32 v41, v8, v42
	v_fma_f32 v8, v8, v43, -v9
	v_fmac_f32_e32 v63, v10, v46
	v_fma_f32 v9, v10, v47, -v11
	v_mul_f32_e32 v10, v3, v55
	v_mul_f32_e32 v3, v3, v54
	v_fma_f32 v42, v4, v45, -v5
	v_mul_f32_e32 v5, v15, v56
	v_mul_f32_e32 v43, v92, v58
	;; [unrolled: 1-line block ×6, first 2 shown]
	v_fmac_f32_e32 v88, v4, v44
	v_mul_f32_e32 v44, v90, v60
	v_mul_f32_e32 v4, v15, v57
	;; [unrolled: 1-line block ×3, first 2 shown]
	v_fmac_f32_e32 v119, v0, v50
	v_fma_f32 v0, v0, v51, -v1
	v_fma_f32 v1, v2, v55, -v3
	;; [unrolled: 1-line block ×4, first 2 shown]
	v_fmac_f32_e32 v118, v6, v48
	v_fma_f32 v6, v6, v49, -v7
	v_mul_f32_e32 v7, v90, v61
	v_fmac_f32_e32 v10, v2, v54
	v_fmac_f32_e32 v11, v12, v52
	v_fma_f32 v2, v12, v53, -v13
	v_fma_f32 v12, v89, v61, -v44
	v_fmac_f32_e32 v15, v91, v58
	v_add_f32_e32 v46, v0, v5
	v_fmac_f32_e32 v4, v14, v56
	v_fmac_f32_e32 v7, v89, v60
	v_add_f32_e32 v13, v126, v63
	v_add_f32_e32 v44, v127, v9
	;; [unrolled: 1-line block ×5, first 2 shown]
	v_sub_f32_e32 v56, v6, v3
	v_add_f32_e32 v6, v2, v12
	v_sub_f32_e32 v45, v9, v1
	v_add_f32_e32 v9, v9, v1
	v_add_f32_e32 v48, v41, v119
	;; [unrolled: 1-line block ×3, first 2 shown]
	v_sub_f32_e32 v50, v119, v15
	v_sub_f32_e32 v51, v0, v5
	v_add_f32_e32 v0, v128, v118
	v_add_f32_e32 v57, v42, v2
	;; [unrolled: 1-line block ×3, first 2 shown]
	v_fmac_f32_e32 v8, -0.5, v46
	v_add_f32_e32 v14, v63, v10
	v_sub_f32_e32 v43, v63, v10
	v_add_f32_e32 v59, v11, v7
	v_sub_f32_e32 v11, v11, v7
	v_sub_f32_e32 v60, v2, v12
	v_add_f32_e32 v2, v13, v10
	v_add_f32_e32 v10, v44, v1
	;; [unrolled: 1-line block ×3, first 2 shown]
	v_fmac_f32_e32 v42, -0.5, v6
	v_add_f32_e32 v52, v118, v4
	v_add_f32_e32 v13, v48, v15
	v_fmac_f32_e32 v41, -0.5, v49
	v_add_f32_e32 v15, v0, v4
	v_fma_f32 v44, -0.5, v9, v127
	v_add_f32_e32 v6, v58, v7
	v_add_f32_e32 v7, v57, v12
	v_fmamk_f32 v12, v50, 0x3f5db3d7, v8
	v_fma_f32 v14, -0.5, v14, v126
	v_fmac_f32_e32 v8, 0xbf5db3d7, v50
	v_sub_f32_e32 v53, v118, v4
	v_add_f32_e32 v9, v54, v3
	v_fmac_f32_e32 v129, -0.5, v55
	v_fmac_f32_e32 v88, -0.5, v59
	v_add_f32_e32 v1, v10, v5
	v_sub_f32_e32 v3, v10, v5
	v_fmamk_f32 v10, v11, 0x3f5db3d7, v42
	v_fma_f32 v47, -0.5, v52, v128
	v_fmac_f32_e32 v42, 0xbf5db3d7, v11
	v_fmamk_f32 v46, v51, 0xbf5db3d7, v41
	v_fmamk_f32 v49, v43, 0x3f5db3d7, v44
	v_fmac_f32_e32 v44, 0xbf5db3d7, v43
	v_add_f32_e32 v4, v15, v6
	v_sub_f32_e32 v6, v15, v6
	v_mul_f32_e32 v15, 0xbf5db3d7, v12
	v_mul_f32_e32 v43, 0.5, v12
	v_fmamk_f32 v48, v45, 0xbf5db3d7, v14
	v_fmac_f32_e32 v14, 0x3f5db3d7, v45
	v_fmac_f32_e32 v41, 0x3f5db3d7, v51
	v_mul_f32_e32 v45, 0xbf5db3d7, v8
	v_mul_f32_e32 v52, -0.5, v8
	v_add_f32_e32 v0, v2, v13
	v_sub_f32_e32 v2, v2, v13
	v_fmamk_f32 v13, v60, 0xbf5db3d7, v88
	v_fmamk_f32 v51, v53, 0x3f5db3d7, v129
	v_fmac_f32_e32 v129, 0xbf5db3d7, v53
	v_mul_f32_e32 v53, 0xbf5db3d7, v10
	v_mul_f32_e32 v54, 0.5, v10
	v_fmamk_f32 v50, v56, 0xbf5db3d7, v47
	v_fmac_f32_e32 v47, 0x3f5db3d7, v56
	v_fmac_f32_e32 v88, 0x3f5db3d7, v60
	v_mul_f32_e32 v55, 0xbf5db3d7, v42
	v_mul_f32_e32 v56, -0.5, v42
	v_fmac_f32_e32 v15, 0.5, v46
	v_fmac_f32_e32 v43, 0x3f5db3d7, v46
	v_fmac_f32_e32 v45, -0.5, v41
	v_fmac_f32_e32 v52, 0x3f5db3d7, v41
	v_fmac_f32_e32 v53, 0.5, v13
	v_fmac_f32_e32 v54, 0x3f5db3d7, v13
	v_fmac_f32_e32 v55, -0.5, v88
	v_fmac_f32_e32 v56, 0x3f5db3d7, v88
	v_add_f32_e32 v5, v9, v7
	v_sub_f32_e32 v7, v9, v7
	v_add_f32_e32 v8, v48, v15
	v_add_f32_e32 v9, v49, v43
	;; [unrolled: 1-line block ×4, first 2 shown]
	v_sub_f32_e32 v12, v48, v15
	v_sub_f32_e32 v13, v49, v43
	;; [unrolled: 1-line block ×4, first 2 shown]
	v_add_f32_e32 v41, v50, v53
	v_add_f32_e32 v42, v51, v54
	;; [unrolled: 1-line block ×4, first 2 shown]
	v_sub_f32_e32 v46, v129, v56
	v_sub_f32_e32 v45, v47, v55
	;; [unrolled: 1-line block ×4, first 2 shown]
	ds_write2_b64 v120, v[0:1], v[8:9] offset1:6
	ds_write2_b64 v120, v[10:11], v[2:3] offset0:12 offset1:18
	ds_write2_b64 v120, v[12:13], v[14:15] offset0:24 offset1:30
	ds_write2_b64 v121, v[4:5], v[41:42] offset1:6
	ds_write2_b64 v121, v[43:44], v[6:7] offset0:12 offset1:18
	ds_write2_b64 v121, v[47:48], v[45:46] offset0:24 offset1:30
	v_mov_b32_e32 v41, v62
	s_waitcnt lgkmcnt(0)
	s_barrier
	buffer_gl0_inv
	ds_read2_b64 v[0:3], v116 offset0:16 offset1:232
	v_lshlrev_b64 v[40:41], 3, v[40:41]
	ds_read2_b64 v[4:7], v114 offset0:32 offset1:248
	ds_read2_b64 v[8:11], v115 offset0:16 offset1:232
	ds_read2_b64 v[12:15], v112 offset1:216
	v_lshlrev_b64 v[48:49], 3, v[132:133]
	s_mul_hi_u32 s3, s0, 0xd80
	v_add_co_u32 v50, vcc_lo, s4, v40
	v_add_co_ci_u32_e32 v51, vcc_lo, s5, v41, vcc_lo
	ds_read2_b64 v[40:43], v113 offset0:16 offset1:232
	ds_read2_b64 v[44:47], v111 offset1:216
	s_waitcnt lgkmcnt(0)
	s_barrier
	buffer_gl0_inv
	s_add_i32 s3, s3, s6
	v_mul_f32_e32 v54, v21, v3
	v_mul_f32_e32 v52, v17, v1
	;; [unrolled: 1-line block ×17, first 2 shown]
	v_fmac_f32_e32 v54, v20, v2
	v_fmac_f32_e32 v55, v22, v6
	v_fma_f32 v2, v24, v9, -v25
	v_fma_f32 v6, v95, v41, -v61
	v_mul_f32_e32 v59, v31, v15
	v_mul_f32_e32 v31, v31, v14
	;; [unrolled: 1-line block ×3, first 2 shown]
	v_fmac_f32_e32 v52, v16, v0
	v_fma_f32 v16, v16, v1, -v17
	v_fmac_f32_e32 v53, v18, v4
	v_fma_f32 v0, v18, v5, -v19
	v_fma_f32 v1, v22, v7, -v23
	v_fmac_f32_e32 v56, v24, v8
	v_fma_f32 v4, v28, v11, -v29
	v_fma_f32 v7, v93, v43, -v63
	;; [unrolled: 1-line block ×3, first 2 shown]
	v_fmac_f32_e32 v57, v26, v12
	v_fma_f32 v3, v26, v13, -v27
	v_fmac_f32_e32 v60, v95, v40
	v_add_f32_e32 v13, v2, v6
	v_fmac_f32_e32 v58, v28, v10
	v_fma_f32 v5, v30, v15, -v31
	v_fmac_f32_e32 v62, v93, v42
	v_add_f32_e32 v8, v44, v53
	v_add_f32_e32 v11, v45, v0
	;; [unrolled: 1-line block ×4, first 2 shown]
	v_fmac_f32_e32 v59, v30, v14
	v_add_f32_e32 v9, v53, v57
	v_add_f32_e32 v14, v16, v2
	v_add_f32_e32 v18, v56, v60
	v_sub_f32_e32 v19, v56, v60
	v_fmac_f32_e32 v16, -0.5, v13
	v_sub_f32_e32 v12, v0, v3
	v_add_f32_e32 v0, v0, v3
	v_sub_f32_e32 v20, v2, v6
	v_add_f32_e32 v2, v1, v5
	v_add_f32_e32 v22, v58, v62
	;; [unrolled: 1-line block ×3, first 2 shown]
	v_sub_f32_e32 v27, v58, v62
	v_add_f32_e32 v8, v8, v57
	v_add_f32_e32 v3, v11, v3
	;; [unrolled: 1-line block ×3, first 2 shown]
	v_fmac_f32_e32 v17, -0.5, v24
	v_add_f32_e32 v21, v47, v1
	v_add_f32_e32 v23, v54, v58
	v_fmac_f32_e32 v52, -0.5, v18
	v_add_f32_e32 v6, v14, v6
	v_fma_f32 v14, -0.5, v9, v44
	v_fmamk_f32 v18, v19, 0x3f5db3d7, v16
	v_fmac_f32_e32 v16, 0xbf5db3d7, v19
	v_sub_f32_e32 v10, v53, v57
	v_sub_f32_e32 v4, v4, v7
	v_add_f32_e32 v28, v55, v59
	v_add_f32_e32 v29, v46, v55
	v_fma_f32 v31, -0.5, v0, v45
	v_fmac_f32_e32 v47, -0.5, v2
	v_fmac_f32_e32 v54, -0.5, v22
	v_add_f32_e32 v0, v8, v11
	v_sub_f32_e32 v2, v8, v11
	v_fmamk_f32 v8, v27, 0x3f5db3d7, v17
	v_add_f32_e32 v7, v25, v7
	v_add_f32_e32 v15, v21, v5
	v_fmac_f32_e32 v17, 0xbf5db3d7, v27
	v_add_f32_e32 v13, v23, v62
	v_fmamk_f32 v21, v20, 0xbf5db3d7, v52
	v_fmamk_f32 v23, v12, 0xbf5db3d7, v14
	v_fmac_f32_e32 v14, 0x3f5db3d7, v12
	v_mul_f32_e32 v12, 0xbf5db3d7, v18
	v_mul_f32_e32 v18, 0.5, v18
	v_fmac_f32_e32 v52, 0x3f5db3d7, v20
	v_mul_f32_e32 v19, 0xbf5db3d7, v16
	v_mul_f32_e32 v20, -0.5, v16
	v_sub_f32_e32 v26, v55, v59
	v_sub_f32_e32 v30, v1, v5
	v_fma_f32 v22, -0.5, v28, v46
	v_add_f32_e32 v9, v29, v59
	v_fmamk_f32 v24, v10, 0x3f5db3d7, v31
	v_fmac_f32_e32 v31, 0xbf5db3d7, v10
	v_fmamk_f32 v10, v4, 0xbf5db3d7, v54
	v_mul_f32_e32 v28, 0xbf5db3d7, v8
	v_mul_f32_e32 v29, 0.5, v8
	v_fmac_f32_e32 v54, 0x3f5db3d7, v4
	v_add_f32_e32 v5, v15, v7
	v_sub_f32_e32 v7, v15, v7
	v_mul_f32_e32 v15, -0.5, v17
	v_mul_f32_e32 v27, 0xbf5db3d7, v17
	v_fmac_f32_e32 v12, 0.5, v21
	v_fmac_f32_e32 v18, 0x3f5db3d7, v21
	v_fmac_f32_e32 v19, -0.5, v52
	v_fmac_f32_e32 v20, 0x3f5db3d7, v52
	v_fmamk_f32 v25, v26, 0x3f5db3d7, v47
	v_fmac_f32_e32 v47, 0xbf5db3d7, v26
	v_fmamk_f32 v26, v30, 0xbf5db3d7, v22
	v_fmac_f32_e32 v28, 0.5, v10
	v_fmac_f32_e32 v29, 0x3f5db3d7, v10
	v_fmac_f32_e32 v22, 0x3f5db3d7, v30
	;; [unrolled: 1-line block ×3, first 2 shown]
	v_fmac_f32_e32 v27, -0.5, v54
	v_add_f32_e32 v1, v3, v6
	v_sub_f32_e32 v3, v3, v6
	v_add_f32_e32 v4, v9, v13
	v_sub_f32_e32 v6, v9, v13
	v_add_f32_e32 v8, v23, v12
	v_add_f32_e32 v9, v24, v18
	;; [unrolled: 1-line block ×4, first 2 shown]
	v_sub_f32_e32 v16, v23, v12
	v_sub_f32_e32 v17, v24, v18
	;; [unrolled: 1-line block ×4, first 2 shown]
	v_add_f32_e32 v20, v26, v28
	v_add_f32_e32 v21, v25, v29
	;; [unrolled: 1-line block ×3, first 2 shown]
	v_sub_f32_e32 v15, v47, v15
	v_add_f32_e32 v12, v22, v27
	v_sub_f32_e32 v14, v22, v27
	v_sub_f32_e32 v22, v26, v28
	;; [unrolled: 1-line block ×3, first 2 shown]
	ds_write2_b64 v123, v[0:1], v[8:9] offset1:36
	ds_write2_b64 v123, v[10:11], v[2:3] offset0:72 offset1:108
	ds_write2_b64 v123, v[16:17], v[18:19] offset0:144 offset1:180
	ds_write2_b64 v122, v[4:5], v[20:21] offset1:36
	ds_write2_b64 v122, v[12:13], v[6:7] offset0:72 offset1:108
	ds_write2_b64 v122, v[22:23], v[14:15] offset0:144 offset1:180
	s_waitcnt lgkmcnt(0)
	s_barrier
	buffer_gl0_inv
	ds_read2_b64 v[6:9], v116 offset0:16 offset1:232
	ds_read2_b64 v[10:13], v114 offset0:32 offset1:248
	;; [unrolled: 1-line block ×3, first 2 shown]
	ds_read2_b64 v[18:21], v112 offset1:216
	ds_read2_b64 v[22:25], v113 offset0:16 offset1:232
	ds_read2_b64 v[26:29], v111 offset1:216
	v_add_co_u32 v0, vcc_lo, v50, v48
	v_add_co_ci_u32_e32 v1, vcc_lo, v51, v49, vcc_lo
	s_waitcnt lgkmcnt(0)
	s_barrier
	buffer_gl0_inv
	v_add_co_u32 v2, vcc_lo, v0, s2
	v_add_co_ci_u32_e32 v3, vcc_lo, s3, v1, vcc_lo
	v_add_co_u32 v4, vcc_lo, v2, s2
	v_add_co_ci_u32_e32 v5, vcc_lo, s3, v3, vcc_lo
	v_mul_f32_e32 v30, v33, v7
	v_mul_f32_e32 v31, v33, v6
	;; [unrolled: 1-line block ×20, first 2 shown]
	v_fmac_f32_e32 v30, v32, v6
	v_fma_f32 v31, v32, v7, -v31
	v_fmac_f32_e32 v42, v32, v8
	v_fmac_f32_e32 v40, v34, v10
	v_fma_f32 v6, v34, v11, -v41
	v_fmac_f32_e32 v43, v34, v12
	;; [unrolled: 3-line block ×3, first 2 shown]
	v_fma_f32 v12, v97, v23, -v51
	v_fma_f32 v32, v32, v9, -v33
	;; [unrolled: 1-line block ×5, first 2 shown]
	v_fmac_f32_e32 v46, v36, v16
	v_fma_f32 v10, v38, v19, -v48
	v_fmac_f32_e32 v49, v38, v20
	v_fma_f32 v11, v38, v21, -v39
	v_fmac_f32_e32 v50, v97, v22
	v_fmac_f32_e32 v52, v97, v24
	v_add_f32_e32 v15, v40, v47
	v_add_f32_e32 v17, v27, v6
	;; [unrolled: 1-line block ×3, first 2 shown]
	v_sub_f32_e32 v21, v8, v12
	v_add_f32_e32 v22, v31, v8
	v_add_f32_e32 v8, v8, v12
	;; [unrolled: 1-line block ×4, first 2 shown]
	v_sub_f32_e32 v18, v40, v47
	v_sub_f32_e32 v38, v9, v13
	v_add_f32_e32 v40, v32, v9
	v_add_f32_e32 v9, v9, v13
	v_sub_f32_e32 v16, v6, v10
	v_add_f32_e32 v6, v6, v10
	v_add_f32_e32 v20, v44, v50
	;; [unrolled: 3-line block ×3, first 2 shown]
	v_add_f32_e32 v10, v17, v10
	v_add_f32_e32 v17, v19, v50
	v_fmac_f32_e32 v31, -0.5, v8
	v_add_f32_e32 v19, v24, v49
	v_fma_f32 v24, -0.5, v15, v26
	v_add_f32_e32 v34, v29, v7
	v_add_f32_e32 v37, v46, v52
	v_sub_f32_e32 v39, v46, v52
	v_add_f32_e32 v14, v14, v47
	v_fmac_f32_e32 v32, -0.5, v9
	v_sub_f32_e32 v33, v7, v11
	v_add_f32_e32 v7, v7, v11
	v_fmac_f32_e32 v30, -0.5, v20
	v_add_f32_e32 v12, v22, v12
	v_add_f32_e32 v22, v36, v52
	v_fma_f32 v26, -0.5, v6, v27
	v_fma_f32 v28, -0.5, v25, v28
	v_fmamk_f32 v25, v16, 0xbf5db3d7, v24
	v_fmac_f32_e32 v24, 0x3f5db3d7, v16
	v_fmamk_f32 v16, v23, 0x3f5db3d7, v31
	v_add_f32_e32 v20, v34, v11
	v_add_f32_e32 v13, v40, v13
	v_fmac_f32_e32 v31, 0xbf5db3d7, v23
	v_fmac_f32_e32 v42, -0.5, v37
	v_add_f32_e32 v6, v14, v17
	v_sub_f32_e32 v8, v14, v17
	v_fmamk_f32 v17, v39, 0x3f5db3d7, v32
	v_sub_f32_e32 v35, v43, v49
	v_fmac_f32_e32 v29, -0.5, v7
	v_fmac_f32_e32 v32, 0xbf5db3d7, v39
	v_fmamk_f32 v27, v18, 0x3f5db3d7, v26
	v_fmac_f32_e32 v26, 0xbf5db3d7, v18
	v_fmamk_f32 v15, v21, 0xbf5db3d7, v30
	v_add_f32_e32 v7, v10, v12
	v_sub_f32_e32 v9, v10, v12
	v_add_f32_e32 v10, v19, v22
	v_sub_f32_e32 v12, v19, v22
	v_mul_f32_e32 v18, 0xbf5db3d7, v16
	v_mul_f32_e32 v19, 0.5, v16
	v_fmac_f32_e32 v30, 0x3f5db3d7, v21
	v_add_f32_e32 v11, v20, v13
	v_sub_f32_e32 v13, v20, v13
	v_mul_f32_e32 v20, 0xbf5db3d7, v31
	v_mul_f32_e32 v21, -0.5, v31
	v_fmamk_f32 v14, v38, 0xbf5db3d7, v42
	v_mul_f32_e32 v31, 0xbf5db3d7, v17
	v_mul_f32_e32 v36, 0.5, v17
	v_fmamk_f32 v34, v33, 0xbf5db3d7, v28
	v_fmac_f32_e32 v28, 0x3f5db3d7, v33
	v_fmamk_f32 v33, v35, 0x3f5db3d7, v29
	v_fmac_f32_e32 v29, 0xbf5db3d7, v35
	v_fmac_f32_e32 v42, 0x3f5db3d7, v38
	v_mul_f32_e32 v35, 0xbf5db3d7, v32
	v_mul_f32_e32 v32, -0.5, v32
	v_fmac_f32_e32 v18, 0.5, v15
	v_fmac_f32_e32 v19, 0x3f5db3d7, v15
	v_fmac_f32_e32 v20, -0.5, v30
	v_fmac_f32_e32 v21, 0x3f5db3d7, v30
	v_fmac_f32_e32 v31, 0.5, v14
	v_fmac_f32_e32 v36, 0x3f5db3d7, v14
	v_fmac_f32_e32 v35, -0.5, v42
	v_fmac_f32_e32 v32, 0x3f5db3d7, v42
	v_add_f32_e32 v14, v25, v18
	v_add_f32_e32 v15, v27, v19
	v_sub_f32_e32 v16, v25, v18
	v_sub_f32_e32 v17, v27, v19
	v_add_f32_e32 v18, v24, v20
	v_add_f32_e32 v19, v26, v21
	v_sub_f32_e32 v20, v24, v20
	v_sub_f32_e32 v21, v26, v21
	v_add_f32_e32 v22, v34, v31
	v_add_f32_e32 v23, v33, v36
	;; [unrolled: 1-line block ×4, first 2 shown]
	v_sub_f32_e32 v24, v34, v31
	v_sub_f32_e32 v25, v33, v36
	;; [unrolled: 1-line block ×4, first 2 shown]
	ds_write2_b64 v111, v[6:7], v[14:15] offset1:216
	ds_write2_b64 v116, v[18:19], v[8:9] offset0:16 offset1:232
	ds_write2_b64 v114, v[16:17], v[20:21] offset0:32 offset1:248
	ds_write2_b64 v115, v[10:11], v[22:23] offset0:16 offset1:232
	ds_write2_b64 v112, v[26:27], v[12:13] offset1:216
	ds_write2_b64 v113, v[24:25], v[28:29] offset0:16 offset1:232
	s_waitcnt lgkmcnt(0)
	s_barrier
	buffer_gl0_inv
	ds_read2_b64 v[10:13], v115 offset0:16 offset1:232
	ds_read2_b64 v[14:17], v112 offset1:216
	ds_read2_b64 v[18:21], v113 offset0:16 offset1:232
	ds_read2_b64 v[22:25], v111 offset1:216
	ds_read2_b64 v[26:29], v116 offset0:16 offset1:232
	ds_read2_b64 v[30:33], v114 offset0:32 offset1:248
	v_add_co_u32 v6, vcc_lo, v4, s2
	v_add_co_ci_u32_e32 v7, vcc_lo, s3, v5, vcc_lo
	v_add_co_u32 v8, vcc_lo, v6, s2
	v_add_co_ci_u32_e32 v9, vcc_lo, s3, v7, vcc_lo
	;; [unrolled: 2-line block ×3, first 2 shown]
	s_waitcnt lgkmcnt(5)
	v_mul_f32_e32 v38, v106, v11
	v_mul_f32_e32 v39, v106, v10
	v_mul_f32_e32 v40, v104, v13
	v_mul_f32_e32 v41, v104, v12
	s_waitcnt lgkmcnt(4)
	v_mul_f32_e32 v42, v102, v15
	v_mul_f32_e32 v43, v102, v14
	v_mul_f32_e32 v44, v100, v17
	v_mul_f32_e32 v45, v100, v16
	;; [unrolled: 5-line block ×3, first 2 shown]
	v_fmac_f32_e32 v38, v105, v10
	v_fma_f32 v11, v105, v11, -v39
	v_fmac_f32_e32 v40, v103, v12
	v_fma_f32 v13, v103, v13, -v41
	;; [unrolled: 2-line block ×6, first 2 shown]
	s_waitcnt lgkmcnt(2)
	v_sub_f32_e32 v10, v22, v38
	v_sub_f32_e32 v11, v23, v11
	v_sub_f32_e32 v12, v24, v40
	v_sub_f32_e32 v13, v25, v13
	s_waitcnt lgkmcnt(1)
	v_sub_f32_e32 v14, v26, v42
	v_sub_f32_e32 v15, v27, v15
	v_sub_f32_e32 v16, v28, v44
	v_sub_f32_e32 v17, v29, v17
	;; [unrolled: 5-line block ×3, first 2 shown]
	v_fma_f32 v22, v22, 2.0, -v10
	v_fma_f32 v23, v23, 2.0, -v11
	;; [unrolled: 1-line block ×12, first 2 shown]
	ds_write_b64 v111, v[10:11] offset:10368
	ds_write2_b64 v111, v[22:23], v[24:25] offset1:216
	ds_write2_b64 v124, v[12:13], v[14:15] offset0:8 offset1:224
	ds_write2_b64 v116, v[26:27], v[28:29] offset0:16 offset1:232
	;; [unrolled: 1-line block ×4, first 2 shown]
	ds_write_b64 v111, v[20:21] offset:19008
	s_waitcnt lgkmcnt(0)
	s_barrier
	buffer_gl0_inv
	ds_read2_b64 v[10:13], v111 offset1:216
	ds_read2_b64 v[14:17], v116 offset0:16 offset1:232
	ds_read2_b64 v[18:21], v114 offset0:32 offset1:248
	;; [unrolled: 1-line block ×3, first 2 shown]
	ds_read2_b64 v[26:29], v112 offset1:216
	ds_read2_b64 v[30:33], v113 offset0:16 offset1:232
	v_mad_u64_u32 v[36:37], null, 0xffffc340, s0, v[34:35]
	s_sub_i32 s0, s1, s0
	v_add_nc_u32_e32 v37, s0, v37
	s_mov_b32 s0, 0xfcd6e9e0
	s_mov_b32 s1, 0x3f3948b0
	v_add_co_u32 v38, vcc_lo, v36, s2
	v_add_co_ci_u32_e32 v39, vcc_lo, s3, v37, vcc_lo
	s_waitcnt lgkmcnt(5)
	v_mul_f32_e32 v42, v67, v11
	v_mul_f32_e32 v43, v67, v10
	s_waitcnt lgkmcnt(4)
	v_mul_f32_e32 v44, v69, v15
	v_mul_f32_e32 v45, v69, v14
	;; [unrolled: 3-line block ×5, first 2 shown]
	v_mul_f32_e32 v50, v65, v13
	v_mul_f32_e32 v51, v65, v12
	s_waitcnt lgkmcnt(0)
	v_mul_f32_e32 v54, v77, v31
	v_mul_f32_e32 v55, v77, v30
	v_fmac_f32_e32 v42, v66, v10
	v_fma_f32 v43, v66, v11, -v43
	v_mul_f32_e32 v56, v75, v17
	v_mul_f32_e32 v57, v75, v16
	v_fmac_f32_e32 v44, v68, v14
	v_fma_f32 v45, v68, v15, -v45
	;; [unrolled: 4-line block ×6, first 2 shown]
	v_fmac_f32_e32 v54, v76, v30
	v_fma_f32 v55, v76, v31, -v55
	v_cvt_f64_f32_e32 v[10:11], v42
	v_cvt_f64_f32_e32 v[12:13], v43
	v_fmac_f32_e32 v56, v74, v16
	v_fma_f32 v57, v74, v17, -v57
	v_cvt_f64_f32_e32 v[14:15], v44
	v_cvt_f64_f32_e32 v[16:17], v45
	;; [unrolled: 4-line block ×6, first 2 shown]
	v_cvt_f64_f32_e32 v[42:43], v50
	v_cvt_f64_f32_e32 v[44:45], v51
	;; [unrolled: 1-line block ×12, first 2 shown]
	v_mul_f64 v[10:11], v[10:11], s[0:1]
	v_mul_f64 v[12:13], v[12:13], s[0:1]
	;; [unrolled: 1-line block ×24, first 2 shown]
	v_cvt_f32_f64_e32 v10, v[10:11]
	v_cvt_f32_f64_e32 v11, v[12:13]
	;; [unrolled: 1-line block ×10, first 2 shown]
	v_add_co_u32 v40, vcc_lo, v38, s2
	v_cvt_f32_f64_e32 v20, v[30:31]
	v_cvt_f32_f64_e32 v21, v[32:33]
	v_cvt_f32_f64_e32 v22, v[42:43]
	v_cvt_f32_f64_e32 v23, v[44:45]
	v_add_co_ci_u32_e32 v41, vcc_lo, s3, v39, vcc_lo
	v_cvt_f32_f64_e32 v24, v[46:47]
	v_cvt_f32_f64_e32 v25, v[48:49]
	;; [unrolled: 1-line block ×8, first 2 shown]
	v_add_co_u32 v42, vcc_lo, v40, s2
	v_cvt_f32_f64_e32 v32, v[62:63]
	v_cvt_f32_f64_e32 v33, v[64:65]
	v_add_co_ci_u32_e32 v43, vcc_lo, s3, v41, vcc_lo
	v_add_co_u32 v44, vcc_lo, v42, s2
	v_add_co_ci_u32_e32 v45, vcc_lo, s3, v43, vcc_lo
	v_add_co_u32 v46, vcc_lo, v44, s2
	v_add_co_ci_u32_e32 v47, vcc_lo, s3, v45, vcc_lo
	global_store_dwordx2 v[0:1], v[10:11], off
	global_store_dwordx2 v[2:3], v[12:13], off
	;; [unrolled: 1-line block ×12, first 2 shown]
.LBB0_2:
	s_endpgm
	.section	.rodata,"a",@progbits
	.p2align	6, 0x0
	.amdhsa_kernel bluestein_single_back_len2592_dim1_sp_op_CI_CI
		.amdhsa_group_segment_fixed_size 20736
		.amdhsa_private_segment_fixed_size 0
		.amdhsa_kernarg_size 104
		.amdhsa_user_sgpr_count 6
		.amdhsa_user_sgpr_private_segment_buffer 1
		.amdhsa_user_sgpr_dispatch_ptr 0
		.amdhsa_user_sgpr_queue_ptr 0
		.amdhsa_user_sgpr_kernarg_segment_ptr 1
		.amdhsa_user_sgpr_dispatch_id 0
		.amdhsa_user_sgpr_flat_scratch_init 0
		.amdhsa_user_sgpr_private_segment_size 0
		.amdhsa_wavefront_size32 1
		.amdhsa_uses_dynamic_stack 0
		.amdhsa_system_sgpr_private_segment_wavefront_offset 0
		.amdhsa_system_sgpr_workgroup_id_x 1
		.amdhsa_system_sgpr_workgroup_id_y 0
		.amdhsa_system_sgpr_workgroup_id_z 0
		.amdhsa_system_sgpr_workgroup_info 0
		.amdhsa_system_vgpr_workitem_id 0
		.amdhsa_next_free_vgpr 140
		.amdhsa_next_free_sgpr 20
		.amdhsa_reserve_vcc 1
		.amdhsa_reserve_flat_scratch 0
		.amdhsa_float_round_mode_32 0
		.amdhsa_float_round_mode_16_64 0
		.amdhsa_float_denorm_mode_32 3
		.amdhsa_float_denorm_mode_16_64 3
		.amdhsa_dx10_clamp 1
		.amdhsa_ieee_mode 1
		.amdhsa_fp16_overflow 0
		.amdhsa_workgroup_processor_mode 1
		.amdhsa_memory_ordered 1
		.amdhsa_forward_progress 0
		.amdhsa_shared_vgpr_count 0
		.amdhsa_exception_fp_ieee_invalid_op 0
		.amdhsa_exception_fp_denorm_src 0
		.amdhsa_exception_fp_ieee_div_zero 0
		.amdhsa_exception_fp_ieee_overflow 0
		.amdhsa_exception_fp_ieee_underflow 0
		.amdhsa_exception_fp_ieee_inexact 0
		.amdhsa_exception_int_div_zero 0
	.end_amdhsa_kernel
	.text
.Lfunc_end0:
	.size	bluestein_single_back_len2592_dim1_sp_op_CI_CI, .Lfunc_end0-bluestein_single_back_len2592_dim1_sp_op_CI_CI
                                        ; -- End function
	.section	.AMDGPU.csdata,"",@progbits
; Kernel info:
; codeLenInByte = 10656
; NumSgprs: 22
; NumVgprs: 140
; ScratchSize: 0
; MemoryBound: 0
; FloatMode: 240
; IeeeMode: 1
; LDSByteSize: 20736 bytes/workgroup (compile time only)
; SGPRBlocks: 2
; VGPRBlocks: 17
; NumSGPRsForWavesPerEU: 22
; NumVGPRsForWavesPerEU: 140
; Occupancy: 7
; WaveLimiterHint : 1
; COMPUTE_PGM_RSRC2:SCRATCH_EN: 0
; COMPUTE_PGM_RSRC2:USER_SGPR: 6
; COMPUTE_PGM_RSRC2:TRAP_HANDLER: 0
; COMPUTE_PGM_RSRC2:TGID_X_EN: 1
; COMPUTE_PGM_RSRC2:TGID_Y_EN: 0
; COMPUTE_PGM_RSRC2:TGID_Z_EN: 0
; COMPUTE_PGM_RSRC2:TIDIG_COMP_CNT: 0
	.text
	.p2alignl 6, 3214868480
	.fill 48, 4, 3214868480
	.type	__hip_cuid_ec26767f888eee94,@object ; @__hip_cuid_ec26767f888eee94
	.section	.bss,"aw",@nobits
	.globl	__hip_cuid_ec26767f888eee94
__hip_cuid_ec26767f888eee94:
	.byte	0                               ; 0x0
	.size	__hip_cuid_ec26767f888eee94, 1

	.ident	"AMD clang version 19.0.0git (https://github.com/RadeonOpenCompute/llvm-project roc-6.4.0 25133 c7fe45cf4b819c5991fe208aaa96edf142730f1d)"
	.section	".note.GNU-stack","",@progbits
	.addrsig
	.addrsig_sym __hip_cuid_ec26767f888eee94
	.amdgpu_metadata
---
amdhsa.kernels:
  - .args:
      - .actual_access:  read_only
        .address_space:  global
        .offset:         0
        .size:           8
        .value_kind:     global_buffer
      - .actual_access:  read_only
        .address_space:  global
        .offset:         8
        .size:           8
        .value_kind:     global_buffer
      - .actual_access:  read_only
        .address_space:  global
        .offset:         16
        .size:           8
        .value_kind:     global_buffer
      - .actual_access:  read_only
        .address_space:  global
        .offset:         24
        .size:           8
        .value_kind:     global_buffer
      - .actual_access:  read_only
        .address_space:  global
        .offset:         32
        .size:           8
        .value_kind:     global_buffer
      - .offset:         40
        .size:           8
        .value_kind:     by_value
      - .address_space:  global
        .offset:         48
        .size:           8
        .value_kind:     global_buffer
      - .address_space:  global
        .offset:         56
        .size:           8
        .value_kind:     global_buffer
      - .address_space:  global
        .offset:         64
        .size:           8
        .value_kind:     global_buffer
      - .address_space:  global
        .offset:         72
        .size:           8
        .value_kind:     global_buffer
      - .offset:         80
        .size:           4
        .value_kind:     by_value
      - .address_space:  global
        .offset:         88
        .size:           8
        .value_kind:     global_buffer
      - .address_space:  global
        .offset:         96
        .size:           8
        .value_kind:     global_buffer
    .group_segment_fixed_size: 20736
    .kernarg_segment_align: 8
    .kernarg_segment_size: 104
    .language:       OpenCL C
    .language_version:
      - 2
      - 0
    .max_flat_workgroup_size: 216
    .name:           bluestein_single_back_len2592_dim1_sp_op_CI_CI
    .private_segment_fixed_size: 0
    .sgpr_count:     22
    .sgpr_spill_count: 0
    .symbol:         bluestein_single_back_len2592_dim1_sp_op_CI_CI.kd
    .uniform_work_group_size: 1
    .uses_dynamic_stack: false
    .vgpr_count:     140
    .vgpr_spill_count: 0
    .wavefront_size: 32
    .workgroup_processor_mode: 1
amdhsa.target:   amdgcn-amd-amdhsa--gfx1030
amdhsa.version:
  - 1
  - 2
...

	.end_amdgpu_metadata
